;; amdgpu-corpus repo=ROCm/aiter kind=compiled arch=gfx906 opt=O3
	.amdgcn_target "amdgcn-amd-amdhsa--gfx906"
	.amdhsa_code_object_version 6
	.section	.text._Z17async_load_kernelILi256EEvPKfPfi,"axG",@progbits,_Z17async_load_kernelILi256EEvPKfPfi,comdat
	.protected	_Z17async_load_kernelILi256EEvPKfPfi ; -- Begin function _Z17async_load_kernelILi256EEvPKfPfi
	.globl	_Z17async_load_kernelILi256EEvPKfPfi
	.p2align	8
	.type	_Z17async_load_kernelILi256EEvPKfPfi,@function
_Z17async_load_kernelILi256EEvPKfPfi:   ; @_Z17async_load_kernelILi256EEvPKfPfi
; %bb.0:
	s_load_dword s0, s[4:5], 0x10
	v_lshl_add_u32 v1, s6, 8, v0
	s_waitcnt lgkmcnt(0)
	v_cmp_gt_i32_e32 vcc, s0, v1
	s_and_saveexec_b64 s[2:3], vcc
	s_cbranch_execz .LBB0_2
; %bb.1:
	s_load_dwordx4 s[4:7], s[4:5], 0x0
	s_lshl_b32 s2, s0, 2
	s_mov_b32 s3, 0x20000
	v_lshlrev_b32_e32 v2, 2, v1
	v_lshlrev_b32_e32 v4, 2, v0
	s_waitcnt lgkmcnt(0)
	s_and_b32 s1, s5, 0xffff
	s_mov_b32 s0, s4
	buffer_load_dword v3, v2, s[0:3], 0 offen
	v_ashrrev_i32_e32 v2, 31, v1
	v_lshlrev_b64 v[0:1], 2, v[1:2]
	v_add_co_u32_e32 v0, vcc, s6, v0
	s_waitcnt vmcnt(0)
	ds_write_b32 v4, v3
	s_waitcnt vmcnt(0) lgkmcnt(0)
	s_barrier
	ds_read_b32 v2, v4
	v_mov_b32_e32 v3, s7
	v_addc_co_u32_e32 v1, vcc, v3, v1, vcc
	s_waitcnt lgkmcnt(0)
	global_store_dword v[0:1], v2, off
.LBB0_2:
	s_endpgm
	.section	.rodata,"a",@progbits
	.p2align	6, 0x0
	.amdhsa_kernel _Z17async_load_kernelILi256EEvPKfPfi
		.amdhsa_group_segment_fixed_size 1024
		.amdhsa_private_segment_fixed_size 0
		.amdhsa_kernarg_size 20
		.amdhsa_user_sgpr_count 6
		.amdhsa_user_sgpr_private_segment_buffer 1
		.amdhsa_user_sgpr_dispatch_ptr 0
		.amdhsa_user_sgpr_queue_ptr 0
		.amdhsa_user_sgpr_kernarg_segment_ptr 1
		.amdhsa_user_sgpr_dispatch_id 0
		.amdhsa_user_sgpr_flat_scratch_init 0
		.amdhsa_user_sgpr_private_segment_size 0
		.amdhsa_uses_dynamic_stack 0
		.amdhsa_system_sgpr_private_segment_wavefront_offset 0
		.amdhsa_system_sgpr_workgroup_id_x 1
		.amdhsa_system_sgpr_workgroup_id_y 0
		.amdhsa_system_sgpr_workgroup_id_z 0
		.amdhsa_system_sgpr_workgroup_info 0
		.amdhsa_system_vgpr_workitem_id 0
		.amdhsa_next_free_vgpr 5
		.amdhsa_next_free_sgpr 8
		.amdhsa_reserve_vcc 1
		.amdhsa_reserve_flat_scratch 0
		.amdhsa_float_round_mode_32 0
		.amdhsa_float_round_mode_16_64 0
		.amdhsa_float_denorm_mode_32 3
		.amdhsa_float_denorm_mode_16_64 3
		.amdhsa_dx10_clamp 1
		.amdhsa_ieee_mode 1
		.amdhsa_fp16_overflow 0
		.amdhsa_exception_fp_ieee_invalid_op 0
		.amdhsa_exception_fp_denorm_src 0
		.amdhsa_exception_fp_ieee_div_zero 0
		.amdhsa_exception_fp_ieee_overflow 0
		.amdhsa_exception_fp_ieee_underflow 0
		.amdhsa_exception_fp_ieee_inexact 0
		.amdhsa_exception_int_div_zero 0
	.end_amdhsa_kernel
	.section	.text._Z17async_load_kernelILi256EEvPKfPfi,"axG",@progbits,_Z17async_load_kernelILi256EEvPKfPfi,comdat
.Lfunc_end0:
	.size	_Z17async_load_kernelILi256EEvPKfPfi, .Lfunc_end0-_Z17async_load_kernelILi256EEvPKfPfi
                                        ; -- End function
	.set _Z17async_load_kernelILi256EEvPKfPfi.num_vgpr, 5
	.set _Z17async_load_kernelILi256EEvPKfPfi.num_agpr, 0
	.set _Z17async_load_kernelILi256EEvPKfPfi.numbered_sgpr, 8
	.set _Z17async_load_kernelILi256EEvPKfPfi.num_named_barrier, 0
	.set _Z17async_load_kernelILi256EEvPKfPfi.private_seg_size, 0
	.set _Z17async_load_kernelILi256EEvPKfPfi.uses_vcc, 1
	.set _Z17async_load_kernelILi256EEvPKfPfi.uses_flat_scratch, 0
	.set _Z17async_load_kernelILi256EEvPKfPfi.has_dyn_sized_stack, 0
	.set _Z17async_load_kernelILi256EEvPKfPfi.has_recursion, 0
	.set _Z17async_load_kernelILi256EEvPKfPfi.has_indirect_call, 0
	.section	.AMDGPU.csdata,"",@progbits
; Kernel info:
; codeLenInByte = 152
; TotalNumSgprs: 12
; NumVgprs: 5
; ScratchSize: 0
; MemoryBound: 0
; FloatMode: 240
; IeeeMode: 1
; LDSByteSize: 1024 bytes/workgroup (compile time only)
; SGPRBlocks: 1
; VGPRBlocks: 1
; NumSGPRsForWavesPerEU: 12
; NumVGPRsForWavesPerEU: 5
; Occupancy: 10
; WaveLimiterHint : 0
; COMPUTE_PGM_RSRC2:SCRATCH_EN: 0
; COMPUTE_PGM_RSRC2:USER_SGPR: 6
; COMPUTE_PGM_RSRC2:TRAP_HANDLER: 0
; COMPUTE_PGM_RSRC2:TGID_X_EN: 1
; COMPUTE_PGM_RSRC2:TGID_Y_EN: 0
; COMPUTE_PGM_RSRC2:TGID_Z_EN: 0
; COMPUTE_PGM_RSRC2:TIDIG_COMP_CNT: 0
	.section	.AMDGPU.gpr_maximums,"",@progbits
	.set amdgpu.max_num_vgpr, 0
	.set amdgpu.max_num_agpr, 0
	.set amdgpu.max_num_sgpr, 0
	.section	.AMDGPU.csdata,"",@progbits
	.type	__hip_cuid_9805d985f9d9ece8,@object ; @__hip_cuid_9805d985f9d9ece8
	.section	.bss,"aw",@nobits
	.globl	__hip_cuid_9805d985f9d9ece8
__hip_cuid_9805d985f9d9ece8:
	.byte	0                               ; 0x0
	.size	__hip_cuid_9805d985f9d9ece8, 1

	.ident	"AMD clang version 22.0.0git (https://github.com/RadeonOpenCompute/llvm-project roc-7.2.4 26084 f58b06dce1f9c15707c5f808fd002e18c2accf7e)"
	.section	".note.GNU-stack","",@progbits
	.addrsig
	.addrsig_sym __hip_cuid_9805d985f9d9ece8
	.amdgpu_metadata
---
amdhsa.kernels:
  - .args:
      - .actual_access:  read_only
        .address_space:  global
        .offset:         0
        .size:           8
        .value_kind:     global_buffer
      - .actual_access:  write_only
        .address_space:  global
        .offset:         8
        .size:           8
        .value_kind:     global_buffer
      - .offset:         16
        .size:           4
        .value_kind:     by_value
    .group_segment_fixed_size: 1024
    .kernarg_segment_align: 8
    .kernarg_segment_size: 20
    .language:       OpenCL C
    .language_version:
      - 2
      - 0
    .max_flat_workgroup_size: 1024
    .name:           _Z17async_load_kernelILi256EEvPKfPfi
    .private_segment_fixed_size: 0
    .sgpr_count:     12
    .sgpr_spill_count: 0
    .symbol:         _Z17async_load_kernelILi256EEvPKfPfi.kd
    .uniform_work_group_size: 1
    .uses_dynamic_stack: false
    .vgpr_count:     5
    .vgpr_spill_count: 0
    .wavefront_size: 64
amdhsa.target:   amdgcn-amd-amdhsa--gfx906
amdhsa.version:
  - 1
  - 2
...

	.end_amdgpu_metadata
